;; amdgpu-corpus repo=ROCm/rocFFT kind=compiled arch=gfx950 opt=O3
	.text
	.amdgcn_target "amdgcn-amd-amdhsa--gfx950"
	.amdhsa_code_object_version 6
	.protected	fft_rtc_fwd_len55_factors_5_11_wgs_132_tpt_11_halfLds_dim1_sp_ip_CI_unitstride_sbrr_dirReg ; -- Begin function fft_rtc_fwd_len55_factors_5_11_wgs_132_tpt_11_halfLds_dim1_sp_ip_CI_unitstride_sbrr_dirReg
	.globl	fft_rtc_fwd_len55_factors_5_11_wgs_132_tpt_11_halfLds_dim1_sp_ip_CI_unitstride_sbrr_dirReg
	.p2align	8
	.type	fft_rtc_fwd_len55_factors_5_11_wgs_132_tpt_11_halfLds_dim1_sp_ip_CI_unitstride_sbrr_dirReg,@function
fft_rtc_fwd_len55_factors_5_11_wgs_132_tpt_11_halfLds_dim1_sp_ip_CI_unitstride_sbrr_dirReg: ; @fft_rtc_fwd_len55_factors_5_11_wgs_132_tpt_11_halfLds_dim1_sp_ip_CI_unitstride_sbrr_dirReg
; %bb.0:
	s_load_dwordx4 s[4:7], s[0:1], 0x10
	s_load_dwordx2 s[8:9], s[0:1], 0x48
	v_mul_u32_u24_e32 v1, 0x1746, v0
	v_lshrrev_b32_e32 v2, 16, v1
	v_mad_u64_u32 v[6:7], s[2:3], s2, 12, v[2:3]
	s_waitcnt lgkmcnt(0)
	s_load_dwordx2 s[4:5], s[4:5], 0x8
	v_mul_lo_u16_e32 v1, 11, v2
	v_mov_b32_e32 v7, 0
	v_sub_u16_e32 v28, v0, v1
	v_cmp_gt_u64_e32 vcc, s[6:7], v[6:7]
	s_waitcnt lgkmcnt(0)
	v_mad_u64_u32 v[4:5], s[2:3], s4, v6, 0
	v_mov_b32_e32 v8, v5
	v_mad_u64_u32 v[8:9], s[2:3], s5, v6, v[8:9]
	v_mov_b32_e32 v5, v8
	v_lshl_add_u64 v[2:3], v[4:5], 3, s[8:9]
	v_lshlrev_b32_e32 v4, 3, v28
                                        ; implicit-def: $vgpr18
                                        ; implicit-def: $vgpr24
                                        ; implicit-def: $vgpr16
                                        ; implicit-def: $vgpr22
                                        ; implicit-def: $vgpr20
	s_and_saveexec_b64 s[2:3], vcc
	s_cbranch_execz .LBB0_2
; %bb.1:
	v_mov_b32_e32 v5, v7
	v_lshl_add_u64 v[0:1], v[2:3], 0, v[4:5]
	global_load_dwordx2 v[8:9], v[0:1], off
	global_load_dwordx2 v[10:11], v[0:1], off offset:88
	global_load_dwordx2 v[16:17], v[0:1], off offset:176
	;; [unrolled: 1-line block ×4, first 2 shown]
	s_waitcnt vmcnt(4)
	v_mov_b32_e32 v18, v9
	s_waitcnt vmcnt(3)
	v_mov_b32_e32 v19, v10
	v_mov_b32_e32 v24, v11
	;; [unrolled: 1-line block ×3, first 2 shown]
.LBB0_2:
	s_or_b64 exec, exec, s[2:3]
	s_mov_b32 s2, 0xaaaaaaab
	v_mul_hi_u32 v0, v6, s2
	v_lshrrev_b32_e32 v0, 3, v0
	v_mul_lo_u32 v0, v0, 12
	v_sub_u32_e32 v0, v6, v0
	v_mul_u32_u24_e32 v8, 55, v0
	v_mov_b32_e32 v0, v19
	s_waitcnt vmcnt(0)
	v_pk_add_f32 v[10:11], v[20:21], v[22:23] neg_lo:[0,1] neg_hi:[0,1]
	v_pk_add_f32 v[0:1], v[0:1], v[16:17] op_sel_hi:[0,1] neg_lo:[0,1] neg_hi:[0,1]
	v_mov_b32_e32 v12, v10
	v_mov_b32_e32 v13, v23
	v_add_f32_e32 v5, v19, v20
	v_pk_add_f32 v[0:1], v[0:1], v[10:11]
	v_pk_add_f32 v[10:11], v[16:17], v[12:13] neg_lo:[0,1] neg_hi:[0,1]
	s_mov_b32 s2, 0x3e9e377a
	v_mul_f32_e32 v31, 0.5, v5
	v_mov_b32_e32 v34, v16
	v_mov_b32_e32 v35, v22
	;; [unrolled: 1-line block ×5, first 2 shown]
	v_pk_add_f32 v[26:27], v[16:17], v[22:23]
	v_mov_b32_e32 v7, v25
	v_mov_b32_e32 v1, v11
	s_mov_b32 s3, 0x3f167918
	v_pk_add_f32 v[34:35], v[34:35], v[36:37] neg_lo:[0,1] neg_hi:[0,1]
	v_pk_add_f32 v[30:31], v[24:25], v[30:31] neg_lo:[0,1] neg_hi:[0,1]
	v_add_f32_e32 v6, v25, v19
	v_fmac_f32_e32 v7, -0.5, v26
	v_pk_mul_f32 v[12:13], v[0:1], s[2:3]
	v_add_f32_e32 v5, v34, v35
	v_mul_f32_e32 v35, 0x3f737871, v30
	v_mov_b32_e32 v34, v16
	v_mov_b32_e32 v0, v22
	;; [unrolled: 1-line block ×3, first 2 shown]
	v_pk_add_f32 v[34:35], v[6:7], v[34:35]
	v_fmac_f32_e32 v7, 0xbf737871, v30
	v_mov_b32_e32 v14, v20
	v_mov_b32_e32 v15, v12
	v_mul_f32_e32 v10, 0x3e9e377a, v5
	v_pk_add_f32 v[0:1], v[34:35], v[0:1]
	v_sub_f32_e32 v5, v7, v13
	s_mov_b32 s2, s3
	v_mul_f32_e32 v33, 0x3f737871, v11
	v_pk_add_f32 v[0:1], v[0:1], v[14:15]
	v_add_f32_e32 v15, v12, v5
	v_mov_b32_e32 v32, 0x3f167918
	v_pk_mul_f32 v[12:13], v[30:31], s[2:3]
	v_fmamk_f32 v6, v11, 0xbf737871, v31
	v_pk_add_f32 v[34:35], v[30:31], v[32:33]
	v_mov_b32_e32 v7, v12
	v_pk_fma_f32 v[12:13], v[30:31], v[32:33], v[6:7]
	v_pk_add_f32 v[6:7], v[34:35], v[6:7] neg_lo:[0,1] neg_hi:[0,1]
	v_mad_u32_u24 v5, v28, 20, 0
	v_mov_b32_e32 v13, v7
	v_mov_b32_e32 v26, v21
	v_pk_add_f32 v[6:7], v[10:11], v[12:13] op_sel_hi:[0,1]
	v_lshl_add_u32 v31, v8, 2, v5
	v_cmp_gt_u16_e64 s[2:3], 5, v28
	v_cmp_lt_u16_e64 s[4:5], 4, v28
	ds_write2_b32 v31, v0, v1 offset1:1
	ds_write2_b32 v31, v6, v7 offset0:2 offset1:3
	ds_write_b32 v31, v15 offset:16
	s_waitcnt lgkmcnt(0)
	s_barrier
	s_and_saveexec_b64 s[6:7], s[4:5]
	s_xor_b64 s[6:7], exec, s[6:7]
	s_or_saveexec_b64 s[6:7], s[6:7]
	v_lshlrev_b32_e32 v29, 2, v8
	v_lshlrev_b32_e32 v30, 2, v28
	;; [unrolled: 1-line block ×3, first 2 shown]
                                        ; implicit-def: $vgpr8
                                        ; implicit-def: $vgpr13
                                        ; implicit-def: $vgpr11
	s_xor_b64 exec, exec, s[6:7]
	s_cbranch_execz .LBB0_4
; %bb.3:
	v_add3_u32 v0, 0, v29, v30
	ds_read_b32 v0, v0
	v_sub_u32_e32 v1, v5, v32
	v_add_u32_e32 v1, v1, v29
	ds_read2_b32 v[34:35], v1 offset0:5 offset1:10
	ds_read2_b32 v[14:15], v1 offset0:15 offset1:20
	ds_read2_b32 v[8:9], v1 offset0:25 offset1:30
	ds_read2_b32 v[10:11], v1 offset0:35 offset1:40
	ds_read2_b32 v[12:13], v1 offset0:45 offset1:50
	s_waitcnt lgkmcnt(4)
	v_mov_b32_e32 v6, v35
	s_waitcnt lgkmcnt(3)
	v_mov_b32_e32 v7, v14
	v_mov_b32_e32 v1, v34
.LBB0_4:
	s_or_b64 exec, exec, s[6:7]
	v_sub_f32_e32 v33, v16, v22
	v_mov_b32_e32 v25, v21
	v_mov_b32_e32 v22, v17
	v_add_f32_e32 v14, v24, v26
	v_mul_f32_e32 v34, 0.5, v27
	v_pk_add_f32 v[38:39], v[24:25], v[22:23] neg_lo:[0,1] neg_hi:[0,1]
	v_mov_b32_e32 v35, v24
	v_mul_f32_e32 v26, 0.5, v14
	v_mov_b32_e32 v27, v20
	s_mov_b32 s7, 0x3f167918
	v_add_f32_e32 v42, v38, v39
	v_pk_add_f32 v[40:41], v[18:19], v[34:35] op_sel_hi:[0,1]
	v_pk_add_f32 v[34:35], v[18:19], v[34:35] op_sel_hi:[0,1] neg_lo:[0,1] neg_hi:[0,1]
	v_mov_b32_e32 v37, v23
	v_mov_b32_e32 v39, v21
	v_pk_add_f32 v[22:23], v[22:23], v[24:25] neg_lo:[0,1] neg_hi:[0,1]
	v_pk_add_f32 v[20:21], v[18:19], v[26:27] neg_lo:[0,1] neg_hi:[0,1]
	v_mov_b32_e32 v35, v41
	v_mul_f32_e32 v40, 0x3f737871, v33
	v_add_f32_e32 v14, v22, v23
	v_mov_b32_e32 v41, 0x3f167918
	v_pk_mul_f32 v[22:23], v[20:21], s[6:7]
	v_mul_f32_e32 v16, 0x3f737871, v21
	v_pk_add_f32 v[24:25], v[20:21], v[40:41]
	v_fmamk_f32 v27, v33, 0xbf737871, v20
	v_mov_b32_e32 v26, v23
	v_mul_f32_e32 v36, 0x3f167918, v33
	v_pk_add_f32 v[16:17], v[34:35], v[16:17]
	v_fmac_f32_e32 v34, 0xbf737871, v21
	v_pk_fma_f32 v[20:21], v[20:21], v[40:41], v[26:27]
	v_pk_add_f32 v[22:23], v[24:25], v[26:27] neg_lo:[0,1] neg_hi:[0,1]
	v_mul_f32_e32 v38, 0x3e9e377a, v42
	v_mul_f32_e32 v14, 0x3e9e377a, v14
	v_pk_add_f32 v[16:17], v[16:17], v[36:37]
	v_fmamk_f32 v18, v33, 0xbf167918, v34
	v_mov_b32_e32 v23, v21
	v_fmac_f32_e32 v18, 0x3e9e377a, v42
	v_pk_add_f32 v[16:17], v[16:17], v[38:39]
	v_pk_add_f32 v[20:21], v[14:15], v[22:23] op_sel_hi:[0,1]
	s_waitcnt lgkmcnt(0)
	s_barrier
	v_mov_b32_e32 v14, v17
	ds_write2_b32 v31, v17, v18 offset1:1
	ds_write2_b32 v31, v20, v21 offset0:2 offset1:3
	ds_write_b32 v31, v16 offset:16
	s_waitcnt lgkmcnt(0)
	s_barrier
	s_and_saveexec_b64 s[6:7], s[4:5]
	s_xor_b64 s[4:5], exec, s[6:7]
                                        ; implicit-def: $vgpr24
                                        ; implicit-def: $vgpr26
                                        ; implicit-def: $vgpr22
; %bb.5:
                                        ; implicit-def: $vgpr29
                                        ; implicit-def: $vgpr30
                                        ; implicit-def: $vgpr5
                                        ; implicit-def: $vgpr32
; %bb.6:
	s_or_saveexec_b64 s[4:5], s[4:5]
                                        ; implicit-def: $vgpr27
                                        ; implicit-def: $vgpr25
                                        ; implicit-def: $vgpr23
	s_xor_b64 exec, exec, s[4:5]
	s_cbranch_execz .LBB0_9
; %bb.7:
	v_add3_u32 v14, 0, v29, v30
	ds_read_b32 v17, v14
	v_sub_u32_e32 v5, v5, v32
	v_add_u32_e32 v5, v5, v29
	ds_read2_b32 v[18:19], v5 offset0:5 offset1:10
	ds_read2_b32 v[30:31], v5 offset0:15 offset1:20
	ds_read2_b32 v[22:23], v5 offset0:25 offset1:30
	ds_read2_b32 v[24:25], v5 offset0:35 offset1:40
	ds_read2_b32 v[26:27], v5 offset0:45 offset1:50
	s_waitcnt lgkmcnt(4)
	v_mov_b32_e32 v20, v19
	s_waitcnt lgkmcnt(3)
	v_mov_b32_e32 v16, v31
	v_mov_b32_e32 v21, v30
	s_or_b64 exec, exec, s[4:5]
	s_and_b64 s[2:3], vcc, s[2:3]
	s_and_saveexec_b64 s[4:5], s[2:3]
	s_cbranch_execnz .LBB0_10
.LBB0_8:
	s_endpgm
.LBB0_9:
	s_or_b64 exec, exec, s[4:5]
	s_and_b64 s[2:3], vcc, s[2:3]
	s_and_saveexec_b64 s[4:5], s[2:3]
	s_cbranch_execz .LBB0_8
.LBB0_10:
	s_movk_i32 s2, 0xcd
	v_mul_lo_u16_sdwa v5, v28, s2 dst_sel:DWORD dst_unused:UNUSED_PAD src0_sel:BYTE_0 src1_sel:DWORD
	v_lshrrev_b16_e32 v5, 10, v5
	s_load_dwordx2 s[0:1], s[0:1], 0x0
	v_mul_lo_u16_e32 v5, 5, v5
	v_sub_u16_e32 v5, v28, v5
	v_mul_lo_u16_e32 v5, 10, v5
	v_and_b32_e32 v5, 0xfe, v5
	v_lshlrev_b32_e32 v5, 3, v5
	s_waitcnt lgkmcnt(0)
	global_load_dwordx4 v[28:31], v5, s[0:1] offset:64
	global_load_dwordx4 v[32:35], v5, s[0:1] offset:48
	global_load_dwordx4 v[36:39], v5, s[0:1]
	global_load_dwordx4 v[40:43], v5, s[0:1] offset:16
	global_load_dwordx4 v[44:47], v5, s[0:1] offset:32
	v_mov_b32_e32 v5, 0
	v_mov_b32_e32 v48, v27
	;; [unrolled: 1-line block ×8, first 2 shown]
	v_lshl_add_u64 v[2:3], v[2:3], 0, v[4:5]
	v_mov_b32_e32 v56, v15
	v_mov_b32_e32 v58, v15
	;; [unrolled: 1-line block ×3, first 2 shown]
	s_mov_b32 s8, 0x3f575c64
	s_mov_b32 s9, 0xbf0a6770
	;; [unrolled: 1-line block ×32, first 2 shown]
	s_waitcnt vmcnt(4)
	v_pk_mul_f32 v[4:5], v[48:49], v[30:31] op_sel_hi:[0,1]
	v_pk_mul_f32 v[26:27], v[26:27], v[28:29] op_sel_hi:[0,1]
	s_waitcnt vmcnt(3)
	v_pk_mul_f32 v[48:49], v[54:55], v[34:35] op_sel_hi:[0,1]
	v_pk_mul_f32 v[24:25], v[24:25], v[32:33] op_sel_hi:[0,1]
	s_waitcnt vmcnt(2)
	v_mul_f32_e32 v9, v18, v37
	v_mul_f32_e32 v11, v1, v37
	v_pk_mul_f32 v[54:55], v[20:21], v[38:39] op_sel_hi:[0,1]
	s_waitcnt vmcnt(1)
	v_pk_mul_f32 v[20:21], v[20:21], v[40:41] op_sel:[1,0]
	v_pk_fma_f32 v[68:69], v[14:15], v[30:31], v[4:5] op_sel:[0,0,1] op_sel_hi:[0,1,0] neg_lo:[0,0,1] neg_hi:[0,0,1]
	v_pk_fma_f32 v[14:15], v[14:15], v[30:31], v[4:5] op_sel:[0,0,1] op_sel_hi:[0,1,0]
	v_pk_fma_f32 v[30:31], v[12:13], v[28:29], v[26:27] op_sel:[0,0,1] op_sel_hi:[1,1,0] neg_lo:[0,0,1] neg_hi:[0,0,1]
	v_pk_fma_f32 v[12:13], v[12:13], v[28:29], v[26:27] op_sel:[0,0,1] op_sel_hi:[0,1,0]
	;; [unrolled: 2-line block ×4, first 2 shown]
	v_fma_f32 v10, v1, v36, -v9
	v_fmac_f32_e32 v11, v18, v36
	v_pk_fma_f32 v[18:19], v[6:7], v[38:39], v[54:55] op_sel:[0,0,1] op_sel_hi:[1,1,0] neg_lo:[0,0,1] neg_hi:[0,0,1]
	v_pk_fma_f32 v[32:33], v[6:7], v[38:39], v[54:55] op_sel:[0,0,1] op_sel_hi:[0,1,0]
	v_mov_b32_e32 v1, v17
	v_pk_mul_f32 v[66:67], v[16:17], v[42:43] op_sel_hi:[0,1]
	v_pk_fma_f32 v[36:37], v[6:7], v[40:41], v[20:21] op_sel:[1,0,1] op_sel_hi:[1,1,0] neg_lo:[0,0,1] neg_hi:[0,0,1]
	v_pk_fma_f32 v[6:7], v[6:7], v[40:41], v[20:21] op_sel:[1,0,1] op_sel_hi:[1,1,0]
	v_mov_b32_e32 v69, v15
	v_add_f32_e32 v5, v11, v15
	v_mov_b32_e32 v19, v33
	v_sub_f32_e32 v4, v11, v15
	v_pk_add_f32 v[14:15], v[0:1], v[10:11]
	s_waitcnt vmcnt(0)
	v_pk_mul_f32 v[64:65], v[64:65], v[46:47] op_sel_hi:[0,1]
	v_pk_mul_f32 v[22:23], v[22:23], v[44:45] op_sel_hi:[0,1]
	v_pk_fma_f32 v[20:21], v[56:57], v[42:43], v[66:67] op_sel:[0,0,1] op_sel_hi:[1,1,0] neg_lo:[0,0,1] neg_hi:[0,0,1]
	v_pk_fma_f32 v[38:39], v[58:59], v[42:43], v[66:67] op_sel:[0,0,1] op_sel_hi:[0,1,0]
	v_mov_b32_e32 v31, v13
	v_mov_b32_e32 v37, v7
	v_pk_add_f32 v[16:17], v[14:15], v[18:19]
	v_pk_fma_f32 v[40:41], v[60:61], v[46:47], v[64:65] op_sel:[0,0,1] op_sel_hi:[1,1,0] neg_lo:[0,0,1] neg_hi:[0,0,1]
	v_pk_fma_f32 v[42:43], v[62:63], v[46:47], v[64:65] op_sel:[0,0,1] op_sel_hi:[0,1,0]
	v_pk_fma_f32 v[46:47], v[8:9], v[44:45], v[22:23] op_sel:[0,0,1] op_sel_hi:[1,1,0] neg_lo:[0,0,1] neg_hi:[0,0,1]
	v_pk_fma_f32 v[8:9], v[8:9], v[44:45], v[22:23] op_sel:[0,0,1] op_sel_hi:[0,1,0]
	v_mov_b32_e32 v21, v39
	v_pk_add_f32 v[22:23], v[18:19], v[30:31] neg_lo:[0,1] neg_hi:[0,1]
	v_pk_add_f32 v[12:13], v[18:19], v[30:31]
	v_pk_add_f32 v[18:19], v[16:17], v[36:37]
	v_mov_b32_e32 v47, v9
	v_pk_add_f32 v[18:19], v[18:19], v[20:21]
	v_mov_b32_e32 v41, v43
	;; [unrolled: 2-line block ×4, first 2 shown]
	v_pk_add_f32 v[18:19], v[34:35], v[18:19]
	v_sub_f32_e32 v45, v10, v68
	v_pk_add_f32 v[18:19], v[26:27], v[18:19]
	v_add_f32_e32 v44, v10, v68
	v_pk_add_f32 v[18:19], v[30:31], v[18:19]
	v_pk_mul_f32 v[14:15], v[44:45], s[8:9]
	v_mov_b32_e32 v38, v12
	v_mov_b32_e32 v39, v22
	v_pk_add_f32 v[18:19], v[68:69], v[18:19]
	v_pk_add_f32 v[24:25], v[36:37], v[26:27] neg_lo:[0,1] neg_hi:[0,1]
	v_pk_add_f32 v[10:11], v[36:37], v[26:27]
	v_pk_fma_f32 v[36:37], v[4:5], s[0:1], v[14:15] neg_lo:[1,0,0] neg_hi:[1,0,0]
	v_pk_fma_f32 v[16:17], v[4:5], s[0:1], v[14:15]
	global_store_dwordx2 v[2:3], v[18:19], off
	v_pk_mul_f32 v[18:19], v[38:39], s[14:15]
	v_mov_b32_e32 v12, v23
	v_pk_add_f32 v[28:29], v[20:21], v[34:35] neg_lo:[0,1] neg_hi:[0,1]
	v_pk_add_f32 v[8:9], v[20:21], v[34:35]
	v_mov_b32_e32 v37, v17
	v_pk_fma_f32 v[22:23], v[12:13], s[2:3], v[18:19] neg_lo:[1,0,0] neg_hi:[1,0,0]
	v_pk_fma_f32 v[20:21], v[12:13], s[2:3], v[18:19]
	v_pk_add_f32 v[36:37], v[0:1], v[36:37]
	v_mov_b32_e32 v23, v21
	v_mov_b32_e32 v34, v10
	;; [unrolled: 1-line block ×3, first 2 shown]
	v_pk_add_f32 v[26:27], v[36:37], v[22:23]
	v_pk_mul_f32 v[22:23], v[34:35], s[20:21]
	v_mov_b32_e32 v10, v25
	v_pk_fma_f32 v[30:31], v[10:11], s[4:5], v[22:23] neg_lo:[1,0,0] neg_hi:[1,0,0]
	v_pk_fma_f32 v[24:25], v[10:11], s[4:5], v[22:23]
	v_mov_b32_e32 v36, v8
	v_mov_b32_e32 v31, v25
	;; [unrolled: 1-line block ×3, first 2 shown]
	v_pk_add_f32 v[30:31], v[26:27], v[30:31]
	v_pk_mul_f32 v[26:27], v[36:37], s[22:23]
	v_mov_b32_e32 v8, v29
	v_pk_add_f32 v[32:33], v[46:47], v[40:41] neg_lo:[0,1] neg_hi:[0,1]
	v_pk_add_f32 v[6:7], v[46:47], v[40:41]
	v_pk_fma_f32 v[40:41], v[8:9], s[6:7], v[26:27] neg_lo:[1,0,0] neg_hi:[1,0,0]
	v_pk_fma_f32 v[28:29], v[8:9], s[6:7], v[26:27]
	v_mov_b32_e32 v42, v6
	v_mov_b32_e32 v41, v29
	;; [unrolled: 1-line block ×3, first 2 shown]
	v_pk_add_f32 v[40:41], v[30:31], v[40:41]
	v_pk_mul_f32 v[30:31], v[42:43], s[26:27]
	v_mov_b32_e32 v6, v33
	v_pk_fma_f32 v[46:47], v[6:7], s[10:11], v[30:31] neg_lo:[1,0,0] neg_hi:[1,0,0]
	v_pk_fma_f32 v[32:33], v[6:7], s[10:11], v[30:31]
	v_pk_mul_f32 v[50:51], v[38:39], s[22:23]
	v_mov_b32_e32 v47, v33
	v_pk_add_f32 v[40:41], v[40:41], v[46:47]
	global_store_dwordx2 v[2:3], v[40:41], off offset:40
	v_pk_mul_f32 v[40:41], v[44:45], s[14:15]
	v_pk_fma_f32 v[52:53], v[12:13], s[6:7], v[50:51] neg_lo:[1,0,0] neg_hi:[1,0,0]
	v_pk_fma_f32 v[46:47], v[4:5], s[2:3], v[40:41] neg_lo:[1,0,0] neg_hi:[1,0,0]
	v_pk_fma_f32 v[48:49], v[4:5], s[2:3], v[40:41]
	v_pk_fma_f32 v[54:55], v[12:13], s[6:7], v[50:51]
	v_mov_b32_e32 v47, v49
	v_pk_add_f32 v[46:47], v[0:1], v[46:47]
	v_mov_b32_e32 v53, v55
	v_pk_add_f32 v[46:47], v[46:47], v[52:53]
	v_pk_mul_f32 v[52:53], v[34:35], s[24:25]
	v_pk_mul_f32 v[70:71], v[38:39], s[24:25]
	v_pk_fma_f32 v[56:57], v[10:11], s[12:13], v[52:53] neg_lo:[1,0,0] neg_hi:[1,0,0]
	v_pk_fma_f32 v[58:59], v[10:11], s[12:13], v[52:53]
	v_pk_fma_f32 v[72:73], v[12:13], s[12:13], v[70:71] neg_lo:[1,0,0] neg_hi:[1,0,0]
	v_mov_b32_e32 v57, v59
	v_pk_add_f32 v[46:47], v[46:47], v[56:57]
	v_pk_mul_f32 v[56:57], v[36:37], s[28:29]
	v_pk_fma_f32 v[74:75], v[12:13], s[12:13], v[70:71]
	v_pk_fma_f32 v[60:61], v[8:9], s[16:17], v[56:57] neg_lo:[1,0,0] neg_hi:[1,0,0]
	v_pk_fma_f32 v[62:63], v[8:9], s[16:17], v[56:57]
	v_mov_b32_e32 v73, v75
	v_mov_b32_e32 v61, v63
	v_pk_add_f32 v[46:47], v[46:47], v[60:61]
	v_pk_mul_f32 v[60:61], v[42:43], s[30:31]
	s_mov_b32 s15, 0x3f68dda4
	v_pk_fma_f32 v[64:65], v[6:7], s[18:19], v[60:61] neg_lo:[1,0,0] neg_hi:[1,0,0]
	v_pk_fma_f32 v[66:67], v[6:7], s[18:19], v[60:61]
	s_mov_b32 s24, s15
	v_mov_b32_e32 v65, v67
	v_pk_add_f32 v[46:47], v[46:47], v[64:65]
	global_store_dwordx2 v[2:3], v[46:47], off offset:80
	v_pk_mul_f32 v[46:47], v[44:45], s[20:21]
	s_mov_b32 s25, s14
	v_pk_fma_f32 v[64:65], v[4:5], s[4:5], v[46:47] neg_lo:[1,0,0] neg_hi:[1,0,0]
	v_pk_fma_f32 v[68:69], v[4:5], s[4:5], v[46:47]
	v_pk_mul_f32 v[90:91], v[38:39], s[28:29]
	v_mov_b32_e32 v65, v69
	v_pk_add_f32 v[64:65], v[0:1], v[64:65]
	v_pk_fma_f32 v[92:93], v[12:13], s[16:17], v[90:91] neg_lo:[1,0,0] neg_hi:[1,0,0]
	v_pk_add_f32 v[64:65], v[64:65], v[72:73]
	v_pk_mul_f32 v[72:73], v[34:35], s[14:15]
	v_pk_fma_f32 v[94:95], v[12:13], s[16:17], v[90:91]
	v_pk_fma_f32 v[76:77], v[10:11], s[24:25], v[72:73] neg_lo:[1,0,0] neg_hi:[1,0,0]
	v_pk_fma_f32 v[78:79], v[10:11], s[24:25], v[72:73]
	v_mov_b32_e32 v93, v95
	v_mov_b32_e32 v77, v79
	v_pk_add_f32 v[64:65], v[64:65], v[76:77]
	v_pk_mul_f32 v[76:77], v[36:37], s[8:9]
	v_pk_mul_f32 v[38:39], v[38:39], s[30:31]
	v_pk_fma_f32 v[80:81], v[8:9], s[0:1], v[76:77] neg_lo:[1,0,0] neg_hi:[1,0,0]
	v_pk_fma_f32 v[82:83], v[8:9], s[0:1], v[76:77]
	v_pk_fma_f32 v[108:109], v[12:13], s[18:19], v[38:39] neg_lo:[1,0,0] neg_hi:[1,0,0]
	v_mov_b32_e32 v81, v83
	v_pk_add_f32 v[64:65], v[64:65], v[80:81]
	v_pk_mul_f32 v[80:81], v[42:43], s[22:23]
	v_pk_fma_f32 v[110:111], v[12:13], s[18:19], v[38:39]
	v_pk_fma_f32 v[84:85], v[6:7], s[6:7], v[80:81] neg_lo:[1,0,0] neg_hi:[1,0,0]
	v_pk_fma_f32 v[86:87], v[6:7], s[6:7], v[80:81]
	v_mov_b32_e32 v109, v111
	v_mov_b32_e32 v85, v87
	v_pk_add_f32 v[64:65], v[64:65], v[84:85]
	global_store_dwordx2 v[2:3], v[64:65], off offset:120
	v_pk_mul_f32 v[64:65], v[44:45], s[22:23]
	v_pk_mul_f32 v[44:45], v[44:45], s[26:27]
	v_pk_fma_f32 v[84:85], v[4:5], s[6:7], v[64:65] neg_lo:[1,0,0] neg_hi:[1,0,0]
	v_pk_fma_f32 v[88:89], v[4:5], s[6:7], v[64:65]
	v_pk_fma_f32 v[38:39], v[12:13], s[18:19], v[38:39] neg_lo:[0,0,1] neg_hi:[0,0,1]
	v_mov_b32_e32 v85, v89
	v_pk_add_f32 v[84:85], v[0:1], v[84:85]
	v_mov_b32_e32 v111, v39
	v_pk_add_f32 v[84:85], v[84:85], v[92:93]
	v_pk_mul_f32 v[92:93], v[34:35], s[8:9]
	v_pk_mul_f32 v[34:35], v[34:35], s[22:23]
	v_pk_fma_f32 v[96:97], v[10:11], s[0:1], v[92:93] neg_lo:[1,0,0] neg_hi:[1,0,0]
	v_pk_fma_f32 v[98:99], v[10:11], s[0:1], v[92:93]
	v_pk_fma_f32 v[112:113], v[10:11], s[6:7], v[34:35]
	v_mov_b32_e32 v97, v99
	v_pk_add_f32 v[84:85], v[84:85], v[96:97]
	v_pk_mul_f32 v[96:97], v[36:37], s[26:27]
	v_pk_mul_f32 v[36:37], v[36:37], s[14:15]
	v_pk_fma_f32 v[100:101], v[8:9], s[10:11], v[96:97] neg_lo:[1,0,0] neg_hi:[1,0,0]
	v_pk_fma_f32 v[102:103], v[8:9], s[10:11], v[96:97]
	v_pk_fma_f32 v[114:115], v[8:9], s[24:25], v[36:37]
	;; [unrolled: 7-line block ×3, first 2 shown]
	v_mov_b32_e32 v105, v107
	v_pk_add_f32 v[84:85], v[84:85], v[104:105]
	global_store_dwordx2 v[2:3], v[84:85], off offset:160
	v_pk_fma_f32 v[84:85], v[4:5], s[10:11], v[44:45] neg_lo:[1,0,0] neg_hi:[1,0,0]
	v_pk_fma_f32 v[104:105], v[4:5], s[10:11], v[44:45]
	v_pk_fma_f32 v[44:45], v[4:5], s[10:11], v[44:45] neg_lo:[0,0,1] neg_hi:[0,0,1]
	v_mov_b32_e32 v85, v105
	v_pk_add_f32 v[84:85], v[0:1], v[84:85]
	v_mov_b32_e32 v105, v45
	v_pk_add_f32 v[84:85], v[84:85], v[108:109]
	v_pk_fma_f32 v[108:109], v[10:11], s[6:7], v[34:35] neg_lo:[1,0,0] neg_hi:[1,0,0]
	v_pk_add_f32 v[38:39], v[0:1], v[104:105]
	v_mov_b32_e32 v109, v113
	v_pk_add_f32 v[84:85], v[84:85], v[108:109]
	v_pk_fma_f32 v[108:109], v[8:9], s[24:25], v[36:37] neg_lo:[1,0,0] neg_hi:[1,0,0]
	v_pk_fma_f32 v[34:35], v[10:11], s[6:7], v[34:35] neg_lo:[0,0,1] neg_hi:[0,0,1]
	v_mov_b32_e32 v109, v115
	v_pk_add_f32 v[38:39], v[38:39], v[110:111]
	v_mov_b32_e32 v113, v35
	v_pk_fma_f32 v[36:37], v[8:9], s[24:25], v[36:37] neg_lo:[0,0,1] neg_hi:[0,0,1]
	v_pk_add_f32 v[84:85], v[84:85], v[108:109]
	v_pk_fma_f32 v[108:109], v[6:7], s[4:5], v[42:43] neg_lo:[1,0,0] neg_hi:[1,0,0]
	v_pk_add_f32 v[34:35], v[38:39], v[112:113]
	v_mov_b32_e32 v115, v37
	v_pk_fma_f32 v[36:37], v[6:7], s[4:5], v[42:43] neg_lo:[0,0,1] neg_hi:[0,0,1]
	v_mov_b32_e32 v109, v117
	v_pk_add_f32 v[34:35], v[34:35], v[114:115]
	v_mov_b32_e32 v117, v37
	v_pk_add_f32 v[34:35], v[34:35], v[116:117]
	global_store_dwordx2 v[2:3], v[34:35], off offset:240
	v_pk_fma_f32 v[34:35], v[4:5], s[6:7], v[64:65] neg_lo:[0,0,1] neg_hi:[0,0,1]
	v_pk_fma_f32 v[36:37], v[10:11], s[0:1], v[92:93] neg_lo:[0,0,1] neg_hi:[0,0,1]
	v_mov_b32_e32 v89, v35
	v_pk_fma_f32 v[34:35], v[12:13], s[16:17], v[90:91] neg_lo:[0,0,1] neg_hi:[0,0,1]
	v_mov_b32_e32 v99, v37
	v_mov_b32_e32 v95, v35
	v_pk_add_f32 v[34:35], v[0:1], v[88:89]
	v_pk_fma_f32 v[36:37], v[8:9], s[10:11], v[96:97] neg_lo:[0,0,1] neg_hi:[0,0,1]
	v_pk_add_f32 v[34:35], v[34:35], v[94:95]
	v_mov_b32_e32 v103, v37
	v_pk_add_f32 v[34:35], v[34:35], v[98:99]
	v_pk_fma_f32 v[36:37], v[6:7], s[24:25], v[100:101] neg_lo:[0,0,1] neg_hi:[0,0,1]
	v_pk_add_f32 v[34:35], v[34:35], v[102:103]
	v_mov_b32_e32 v107, v37
	v_pk_add_f32 v[34:35], v[34:35], v[106:107]
	global_store_dwordx2 v[2:3], v[34:35], off offset:280
	v_pk_fma_f32 v[34:35], v[4:5], s[4:5], v[46:47] neg_lo:[0,0,1] neg_hi:[0,0,1]
	v_pk_fma_f32 v[36:37], v[10:11], s[24:25], v[72:73] neg_lo:[0,0,1] neg_hi:[0,0,1]
	v_mov_b32_e32 v69, v35
	v_pk_fma_f32 v[34:35], v[12:13], s[12:13], v[70:71] neg_lo:[0,0,1] neg_hi:[0,0,1]
	v_mov_b32_e32 v79, v37
	v_mov_b32_e32 v75, v35
	v_pk_add_f32 v[34:35], v[0:1], v[68:69]
	v_pk_fma_f32 v[36:37], v[8:9], s[0:1], v[76:77] neg_lo:[0,0,1] neg_hi:[0,0,1]
	v_pk_add_f32 v[34:35], v[34:35], v[74:75]
	v_mov_b32_e32 v83, v37
	v_pk_add_f32 v[34:35], v[34:35], v[78:79]
	v_pk_fma_f32 v[36:37], v[6:7], s[6:7], v[80:81] neg_lo:[0,0,1] neg_hi:[0,0,1]
	v_pk_add_f32 v[34:35], v[34:35], v[82:83]
	v_mov_b32_e32 v87, v37
	v_pk_add_f32 v[34:35], v[34:35], v[86:87]
	global_store_dwordx2 v[2:3], v[34:35], off offset:320
	v_pk_fma_f32 v[34:35], v[4:5], s[2:3], v[40:41] neg_lo:[0,0,1] neg_hi:[0,0,1]
	v_pk_fma_f32 v[4:5], v[4:5], s[0:1], v[14:15] neg_lo:[0,0,1] neg_hi:[0,0,1]
	v_mov_b32_e32 v49, v35
	v_pk_fma_f32 v[36:37], v[12:13], s[6:7], v[50:51] neg_lo:[0,0,1] neg_hi:[0,0,1]
	v_mov_b32_e32 v17, v5
	v_pk_fma_f32 v[4:5], v[12:13], s[2:3], v[18:19] neg_lo:[0,0,1] neg_hi:[0,0,1]
	v_pk_add_f32 v[34:35], v[0:1], v[48:49]
	v_mov_b32_e32 v55, v37
	v_pk_fma_f32 v[36:37], v[10:11], s[12:13], v[52:53] neg_lo:[0,0,1] neg_hi:[0,0,1]
	v_pk_add_f32 v[0:1], v[0:1], v[16:17]
	;; [unrolled: 3-line block ×7, first 2 shown]
	v_mov_b32_e32 v67, v37
	v_pk_add_f32 v[0:1], v[0:1], v[28:29]
	v_mov_b32_e32 v33, v5
	v_pk_add_f32 v[84:85], v[84:85], v[108:109]
	v_pk_add_f32 v[34:35], v[34:35], v[66:67]
	;; [unrolled: 1-line block ×3, first 2 shown]
	global_store_dwordx2 v[2:3], v[84:85], off offset:200
	global_store_dwordx2 v[2:3], v[34:35], off offset:360
	;; [unrolled: 1-line block ×3, first 2 shown]
	s_endpgm
	.section	.rodata,"a",@progbits
	.p2align	6, 0x0
	.amdhsa_kernel fft_rtc_fwd_len55_factors_5_11_wgs_132_tpt_11_halfLds_dim1_sp_ip_CI_unitstride_sbrr_dirReg
		.amdhsa_group_segment_fixed_size 0
		.amdhsa_private_segment_fixed_size 0
		.amdhsa_kernarg_size 80
		.amdhsa_user_sgpr_count 2
		.amdhsa_user_sgpr_dispatch_ptr 0
		.amdhsa_user_sgpr_queue_ptr 0
		.amdhsa_user_sgpr_kernarg_segment_ptr 1
		.amdhsa_user_sgpr_dispatch_id 0
		.amdhsa_user_sgpr_kernarg_preload_length 0
		.amdhsa_user_sgpr_kernarg_preload_offset 0
		.amdhsa_user_sgpr_private_segment_size 0
		.amdhsa_uses_dynamic_stack 0
		.amdhsa_enable_private_segment 0
		.amdhsa_system_sgpr_workgroup_id_x 1
		.amdhsa_system_sgpr_workgroup_id_y 0
		.amdhsa_system_sgpr_workgroup_id_z 0
		.amdhsa_system_sgpr_workgroup_info 0
		.amdhsa_system_vgpr_workitem_id 0
		.amdhsa_next_free_vgpr 118
		.amdhsa_next_free_sgpr 32
		.amdhsa_accum_offset 120
		.amdhsa_reserve_vcc 1
		.amdhsa_float_round_mode_32 0
		.amdhsa_float_round_mode_16_64 0
		.amdhsa_float_denorm_mode_32 3
		.amdhsa_float_denorm_mode_16_64 3
		.amdhsa_dx10_clamp 1
		.amdhsa_ieee_mode 1
		.amdhsa_fp16_overflow 0
		.amdhsa_tg_split 0
		.amdhsa_exception_fp_ieee_invalid_op 0
		.amdhsa_exception_fp_denorm_src 0
		.amdhsa_exception_fp_ieee_div_zero 0
		.amdhsa_exception_fp_ieee_overflow 0
		.amdhsa_exception_fp_ieee_underflow 0
		.amdhsa_exception_fp_ieee_inexact 0
		.amdhsa_exception_int_div_zero 0
	.end_amdhsa_kernel
	.text
.Lfunc_end0:
	.size	fft_rtc_fwd_len55_factors_5_11_wgs_132_tpt_11_halfLds_dim1_sp_ip_CI_unitstride_sbrr_dirReg, .Lfunc_end0-fft_rtc_fwd_len55_factors_5_11_wgs_132_tpt_11_halfLds_dim1_sp_ip_CI_unitstride_sbrr_dirReg
                                        ; -- End function
	.section	.AMDGPU.csdata,"",@progbits
; Kernel info:
; codeLenInByte = 3484
; NumSgprs: 38
; NumVgprs: 118
; NumAgprs: 0
; TotalNumVgprs: 118
; ScratchSize: 0
; MemoryBound: 0
; FloatMode: 240
; IeeeMode: 1
; LDSByteSize: 0 bytes/workgroup (compile time only)
; SGPRBlocks: 4
; VGPRBlocks: 14
; NumSGPRsForWavesPerEU: 38
; NumVGPRsForWavesPerEU: 118
; AccumOffset: 120
; Occupancy: 4
; WaveLimiterHint : 1
; COMPUTE_PGM_RSRC2:SCRATCH_EN: 0
; COMPUTE_PGM_RSRC2:USER_SGPR: 2
; COMPUTE_PGM_RSRC2:TRAP_HANDLER: 0
; COMPUTE_PGM_RSRC2:TGID_X_EN: 1
; COMPUTE_PGM_RSRC2:TGID_Y_EN: 0
; COMPUTE_PGM_RSRC2:TGID_Z_EN: 0
; COMPUTE_PGM_RSRC2:TIDIG_COMP_CNT: 0
; COMPUTE_PGM_RSRC3_GFX90A:ACCUM_OFFSET: 29
; COMPUTE_PGM_RSRC3_GFX90A:TG_SPLIT: 0
	.text
	.p2alignl 6, 3212836864
	.fill 256, 4, 3212836864
	.type	__hip_cuid_a60c4fa19f8b1658,@object ; @__hip_cuid_a60c4fa19f8b1658
	.section	.bss,"aw",@nobits
	.globl	__hip_cuid_a60c4fa19f8b1658
__hip_cuid_a60c4fa19f8b1658:
	.byte	0                               ; 0x0
	.size	__hip_cuid_a60c4fa19f8b1658, 1

	.ident	"AMD clang version 19.0.0git (https://github.com/RadeonOpenCompute/llvm-project roc-6.4.0 25133 c7fe45cf4b819c5991fe208aaa96edf142730f1d)"
	.section	".note.GNU-stack","",@progbits
	.addrsig
	.addrsig_sym __hip_cuid_a60c4fa19f8b1658
	.amdgpu_metadata
---
amdhsa.kernels:
  - .agpr_count:     0
    .args:
      - .actual_access:  read_only
        .address_space:  global
        .offset:         0
        .size:           8
        .value_kind:     global_buffer
      - .actual_access:  read_only
        .address_space:  global
        .offset:         8
        .size:           8
        .value_kind:     global_buffer
      - .actual_access:  read_only
        .address_space:  global
        .offset:         16
        .size:           8
        .value_kind:     global_buffer
      - .offset:         24
        .size:           8
        .value_kind:     by_value
      - .actual_access:  read_only
        .address_space:  global
        .offset:         32
        .size:           8
        .value_kind:     global_buffer
      - .actual_access:  read_only
        .address_space:  global
        .offset:         40
        .size:           8
        .value_kind:     global_buffer
      - .offset:         48
        .size:           4
        .value_kind:     by_value
      - .actual_access:  read_only
        .address_space:  global
        .offset:         56
        .size:           8
        .value_kind:     global_buffer
      - .actual_access:  read_only
        .address_space:  global
        .offset:         64
        .size:           8
        .value_kind:     global_buffer
      - .address_space:  global
        .offset:         72
        .size:           8
        .value_kind:     global_buffer
    .group_segment_fixed_size: 0
    .kernarg_segment_align: 8
    .kernarg_segment_size: 80
    .language:       OpenCL C
    .language_version:
      - 2
      - 0
    .max_flat_workgroup_size: 132
    .name:           fft_rtc_fwd_len55_factors_5_11_wgs_132_tpt_11_halfLds_dim1_sp_ip_CI_unitstride_sbrr_dirReg
    .private_segment_fixed_size: 0
    .sgpr_count:     38
    .sgpr_spill_count: 0
    .symbol:         fft_rtc_fwd_len55_factors_5_11_wgs_132_tpt_11_halfLds_dim1_sp_ip_CI_unitstride_sbrr_dirReg.kd
    .uniform_work_group_size: 1
    .uses_dynamic_stack: false
    .vgpr_count:     118
    .vgpr_spill_count: 0
    .wavefront_size: 64
amdhsa.target:   amdgcn-amd-amdhsa--gfx950
amdhsa.version:
  - 1
  - 2
...

	.end_amdgpu_metadata
